;; amdgpu-corpus repo=ROCm/rocFFT kind=compiled arch=gfx906 opt=O3
	.text
	.amdgcn_target "amdgcn-amd-amdhsa--gfx906"
	.amdhsa_code_object_version 6
	.protected	fft_rtc_fwd_len385_factors_11_7_5_wgs_55_tpt_55_sp_op_CI_CI_unitstride_sbrr_dirReg ; -- Begin function fft_rtc_fwd_len385_factors_11_7_5_wgs_55_tpt_55_sp_op_CI_CI_unitstride_sbrr_dirReg
	.globl	fft_rtc_fwd_len385_factors_11_7_5_wgs_55_tpt_55_sp_op_CI_CI_unitstride_sbrr_dirReg
	.p2align	8
	.type	fft_rtc_fwd_len385_factors_11_7_5_wgs_55_tpt_55_sp_op_CI_CI_unitstride_sbrr_dirReg,@function
fft_rtc_fwd_len385_factors_11_7_5_wgs_55_tpt_55_sp_op_CI_CI_unitstride_sbrr_dirReg: ; @fft_rtc_fwd_len385_factors_11_7_5_wgs_55_tpt_55_sp_op_CI_CI_unitstride_sbrr_dirReg
; %bb.0:
	s_load_dwordx4 s[8:11], s[4:5], 0x58
	s_load_dwordx4 s[12:15], s[4:5], 0x0
	;; [unrolled: 1-line block ×3, first 2 shown]
	v_mul_u32_u24_e32 v1, 0x4a8, v0
	v_add_u32_sdwa v5, s6, v1 dst_sel:DWORD dst_unused:UNUSED_PAD src0_sel:DWORD src1_sel:WORD_1
	v_mov_b32_e32 v3, 0
	s_waitcnt lgkmcnt(0)
	v_cmp_lt_u64_e64 s[0:1], s[14:15], 2
	v_mov_b32_e32 v1, 0
	v_mov_b32_e32 v6, v3
	s_and_b64 vcc, exec, s[0:1]
	v_mov_b32_e32 v2, 0
	s_cbranch_vccnz .LBB0_8
; %bb.1:
	s_load_dwordx2 s[0:1], s[4:5], 0x10
	s_add_u32 s2, s18, 8
	s_addc_u32 s3, s19, 0
	s_add_u32 s6, s16, 8
	v_mov_b32_e32 v1, 0
	s_addc_u32 s7, s17, 0
	v_mov_b32_e32 v2, 0
	s_waitcnt lgkmcnt(0)
	s_add_u32 s20, s0, 8
	v_mov_b32_e32 v21, v2
	s_addc_u32 s21, s1, 0
	s_mov_b64 s[22:23], 1
	v_mov_b32_e32 v20, v1
.LBB0_2:                                ; =>This Inner Loop Header: Depth=1
	s_load_dwordx2 s[24:25], s[20:21], 0x0
                                        ; implicit-def: $vgpr22_vgpr23
	s_waitcnt lgkmcnt(0)
	v_or_b32_e32 v4, s25, v6
	v_cmp_ne_u64_e32 vcc, 0, v[3:4]
	s_and_saveexec_b64 s[0:1], vcc
	s_xor_b64 s[26:27], exec, s[0:1]
	s_cbranch_execz .LBB0_4
; %bb.3:                                ;   in Loop: Header=BB0_2 Depth=1
	v_cvt_f32_u32_e32 v4, s24
	v_cvt_f32_u32_e32 v7, s25
	s_sub_u32 s0, 0, s24
	s_subb_u32 s1, 0, s25
	v_mac_f32_e32 v4, 0x4f800000, v7
	v_rcp_f32_e32 v4, v4
	v_mul_f32_e32 v4, 0x5f7ffffc, v4
	v_mul_f32_e32 v7, 0x2f800000, v4
	v_trunc_f32_e32 v7, v7
	v_mac_f32_e32 v4, 0xcf800000, v7
	v_cvt_u32_f32_e32 v7, v7
	v_cvt_u32_f32_e32 v4, v4
	v_mul_lo_u32 v8, s0, v7
	v_mul_hi_u32 v9, s0, v4
	v_mul_lo_u32 v11, s1, v4
	v_mul_lo_u32 v10, s0, v4
	v_add_u32_e32 v8, v9, v8
	v_add_u32_e32 v8, v8, v11
	v_mul_hi_u32 v9, v4, v10
	v_mul_lo_u32 v11, v4, v8
	v_mul_hi_u32 v13, v4, v8
	v_mul_hi_u32 v12, v7, v10
	v_mul_lo_u32 v10, v7, v10
	v_mul_hi_u32 v14, v7, v8
	v_add_co_u32_e32 v9, vcc, v9, v11
	v_addc_co_u32_e32 v11, vcc, 0, v13, vcc
	v_mul_lo_u32 v8, v7, v8
	v_add_co_u32_e32 v9, vcc, v9, v10
	v_addc_co_u32_e32 v9, vcc, v11, v12, vcc
	v_addc_co_u32_e32 v10, vcc, 0, v14, vcc
	v_add_co_u32_e32 v8, vcc, v9, v8
	v_addc_co_u32_e32 v9, vcc, 0, v10, vcc
	v_add_co_u32_e32 v4, vcc, v4, v8
	v_addc_co_u32_e32 v7, vcc, v7, v9, vcc
	v_mul_lo_u32 v8, s0, v7
	v_mul_hi_u32 v9, s0, v4
	v_mul_lo_u32 v10, s1, v4
	v_mul_lo_u32 v11, s0, v4
	v_add_u32_e32 v8, v9, v8
	v_add_u32_e32 v8, v8, v10
	v_mul_lo_u32 v12, v4, v8
	v_mul_hi_u32 v13, v4, v11
	v_mul_hi_u32 v14, v4, v8
	v_mul_hi_u32 v10, v7, v11
	v_mul_lo_u32 v11, v7, v11
	v_mul_hi_u32 v9, v7, v8
	v_add_co_u32_e32 v12, vcc, v13, v12
	v_addc_co_u32_e32 v13, vcc, 0, v14, vcc
	v_mul_lo_u32 v8, v7, v8
	v_add_co_u32_e32 v11, vcc, v12, v11
	v_addc_co_u32_e32 v10, vcc, v13, v10, vcc
	v_addc_co_u32_e32 v9, vcc, 0, v9, vcc
	v_add_co_u32_e32 v8, vcc, v10, v8
	v_addc_co_u32_e32 v9, vcc, 0, v9, vcc
	v_add_co_u32_e32 v4, vcc, v4, v8
	v_addc_co_u32_e32 v9, vcc, v7, v9, vcc
	v_mad_u64_u32 v[7:8], s[0:1], v5, v9, 0
	v_mul_hi_u32 v10, v5, v4
	v_add_co_u32_e32 v11, vcc, v10, v7
	v_addc_co_u32_e32 v12, vcc, 0, v8, vcc
	v_mad_u64_u32 v[7:8], s[0:1], v6, v4, 0
	v_mad_u64_u32 v[9:10], s[0:1], v6, v9, 0
	v_add_co_u32_e32 v4, vcc, v11, v7
	v_addc_co_u32_e32 v4, vcc, v12, v8, vcc
	v_addc_co_u32_e32 v7, vcc, 0, v10, vcc
	v_add_co_u32_e32 v4, vcc, v4, v9
	v_addc_co_u32_e32 v9, vcc, 0, v7, vcc
	v_mul_lo_u32 v10, s25, v4
	v_mul_lo_u32 v11, s24, v9
	v_mad_u64_u32 v[7:8], s[0:1], s24, v4, 0
	v_add3_u32 v8, v8, v11, v10
	v_sub_u32_e32 v10, v6, v8
	v_mov_b32_e32 v11, s25
	v_sub_co_u32_e32 v7, vcc, v5, v7
	v_subb_co_u32_e64 v10, s[0:1], v10, v11, vcc
	v_subrev_co_u32_e64 v11, s[0:1], s24, v7
	v_subbrev_co_u32_e64 v10, s[0:1], 0, v10, s[0:1]
	v_cmp_le_u32_e64 s[0:1], s25, v10
	v_cndmask_b32_e64 v12, 0, -1, s[0:1]
	v_cmp_le_u32_e64 s[0:1], s24, v11
	v_cndmask_b32_e64 v11, 0, -1, s[0:1]
	v_cmp_eq_u32_e64 s[0:1], s25, v10
	v_cndmask_b32_e64 v10, v12, v11, s[0:1]
	v_add_co_u32_e64 v11, s[0:1], 2, v4
	v_addc_co_u32_e64 v12, s[0:1], 0, v9, s[0:1]
	v_add_co_u32_e64 v13, s[0:1], 1, v4
	v_addc_co_u32_e64 v14, s[0:1], 0, v9, s[0:1]
	v_subb_co_u32_e32 v8, vcc, v6, v8, vcc
	v_cmp_ne_u32_e64 s[0:1], 0, v10
	v_cmp_le_u32_e32 vcc, s25, v8
	v_cndmask_b32_e64 v10, v14, v12, s[0:1]
	v_cndmask_b32_e64 v12, 0, -1, vcc
	v_cmp_le_u32_e32 vcc, s24, v7
	v_cndmask_b32_e64 v7, 0, -1, vcc
	v_cmp_eq_u32_e32 vcc, s25, v8
	v_cndmask_b32_e32 v7, v12, v7, vcc
	v_cmp_ne_u32_e32 vcc, 0, v7
	v_cndmask_b32_e64 v7, v13, v11, s[0:1]
	v_cndmask_b32_e32 v23, v9, v10, vcc
	v_cndmask_b32_e32 v22, v4, v7, vcc
.LBB0_4:                                ;   in Loop: Header=BB0_2 Depth=1
	s_andn2_saveexec_b64 s[0:1], s[26:27]
	s_cbranch_execz .LBB0_6
; %bb.5:                                ;   in Loop: Header=BB0_2 Depth=1
	v_cvt_f32_u32_e32 v4, s24
	s_sub_i32 s26, 0, s24
	v_mov_b32_e32 v23, v3
	v_rcp_iflag_f32_e32 v4, v4
	v_mul_f32_e32 v4, 0x4f7ffffe, v4
	v_cvt_u32_f32_e32 v4, v4
	v_mul_lo_u32 v7, s26, v4
	v_mul_hi_u32 v7, v4, v7
	v_add_u32_e32 v4, v4, v7
	v_mul_hi_u32 v4, v5, v4
	v_mul_lo_u32 v7, v4, s24
	v_add_u32_e32 v8, 1, v4
	v_sub_u32_e32 v7, v5, v7
	v_subrev_u32_e32 v9, s24, v7
	v_cmp_le_u32_e32 vcc, s24, v7
	v_cndmask_b32_e32 v7, v7, v9, vcc
	v_cndmask_b32_e32 v4, v4, v8, vcc
	v_add_u32_e32 v8, 1, v4
	v_cmp_le_u32_e32 vcc, s24, v7
	v_cndmask_b32_e32 v22, v4, v8, vcc
.LBB0_6:                                ;   in Loop: Header=BB0_2 Depth=1
	s_or_b64 exec, exec, s[0:1]
	v_mul_lo_u32 v4, v23, s24
	v_mul_lo_u32 v9, v22, s25
	v_mad_u64_u32 v[7:8], s[0:1], v22, s24, 0
	s_load_dwordx2 s[0:1], s[6:7], 0x0
	s_load_dwordx2 s[24:25], s[2:3], 0x0
	v_add3_u32 v4, v8, v9, v4
	v_sub_co_u32_e32 v5, vcc, v5, v7
	v_subb_co_u32_e32 v4, vcc, v6, v4, vcc
	s_waitcnt lgkmcnt(0)
	v_mul_lo_u32 v6, s0, v4
	v_mul_lo_u32 v7, s1, v5
	v_mad_u64_u32 v[1:2], s[0:1], s0, v5, v[1:2]
	v_mul_lo_u32 v4, s24, v4
	v_mul_lo_u32 v8, s25, v5
	v_mad_u64_u32 v[20:21], s[0:1], s24, v5, v[20:21]
	s_add_u32 s22, s22, 1
	s_addc_u32 s23, s23, 0
	s_add_u32 s2, s2, 8
	v_add3_u32 v21, v8, v21, v4
	s_addc_u32 s3, s3, 0
	v_mov_b32_e32 v4, s14
	s_add_u32 s6, s6, 8
	v_mov_b32_e32 v5, s15
	s_addc_u32 s7, s7, 0
	v_cmp_ge_u64_e32 vcc, s[22:23], v[4:5]
	s_add_u32 s20, s20, 8
	v_add3_u32 v2, v7, v2, v6
	s_addc_u32 s21, s21, 0
	s_cbranch_vccnz .LBB0_9
; %bb.7:                                ;   in Loop: Header=BB0_2 Depth=1
	v_mov_b32_e32 v5, v22
	v_mov_b32_e32 v6, v23
	s_branch .LBB0_2
.LBB0_8:
	v_mov_b32_e32 v21, v2
	v_mov_b32_e32 v23, v6
	;; [unrolled: 1-line block ×4, first 2 shown]
.LBB0_9:
	s_load_dwordx2 s[0:1], s[4:5], 0x28
	s_lshl_b64 s[6:7], s[14:15], 3
	s_add_u32 s2, s18, s6
	s_addc_u32 s3, s19, s7
                                        ; implicit-def: $vgpr24
	s_waitcnt lgkmcnt(0)
	v_cmp_gt_u64_e32 vcc, s[0:1], v[22:23]
	v_cmp_le_u64_e64 s[0:1], s[0:1], v[22:23]
	s_and_saveexec_b64 s[4:5], s[0:1]
	s_xor_b64 s[0:1], exec, s[4:5]
; %bb.10:
	s_mov_b32 s4, 0x4a7904b
	v_mul_hi_u32 v1, v0, s4
	v_mul_u32_u24_e32 v1, 55, v1
	v_sub_u32_e32 v24, v0, v1
                                        ; implicit-def: $vgpr0
                                        ; implicit-def: $vgpr1_vgpr2
; %bb.11:
	s_andn2_saveexec_b64 s[4:5], s[0:1]
	s_cbranch_execz .LBB0_13
; %bb.12:
	s_add_u32 s0, s16, s6
	s_addc_u32 s1, s17, s7
	s_load_dwordx2 s[0:1], s[0:1], 0x0
	s_mov_b32 s6, 0x4a7904b
	v_mul_hi_u32 v5, v0, s6
	s_waitcnt lgkmcnt(0)
	v_mul_lo_u32 v6, s1, v22
	v_mul_lo_u32 v7, s0, v23
	v_mad_u64_u32 v[3:4], s[0:1], s0, v22, 0
	v_mul_u32_u24_e32 v5, 55, v5
	v_sub_u32_e32 v24, v0, v5
	v_add3_u32 v4, v4, v7, v6
	v_lshlrev_b64 v[3:4], 3, v[3:4]
	v_mov_b32_e32 v0, s9
	v_add_co_u32_e64 v3, s[0:1], s8, v3
	v_addc_co_u32_e64 v4, s[0:1], v0, v4, s[0:1]
	v_lshlrev_b64 v[0:1], 3, v[1:2]
	v_lshlrev_b32_e32 v16, 3, v24
	v_add_co_u32_e64 v0, s[0:1], v3, v0
	v_addc_co_u32_e64 v1, s[0:1], v4, v1, s[0:1]
	v_add_co_u32_e64 v0, s[0:1], v0, v16
	v_addc_co_u32_e64 v1, s[0:1], 0, v1, s[0:1]
	global_load_dwordx2 v[2:3], v[0:1], off
	global_load_dwordx2 v[4:5], v[0:1], off offset:440
	global_load_dwordx2 v[6:7], v[0:1], off offset:880
	;; [unrolled: 1-line block ×6, first 2 shown]
	v_add_u32_e32 v0, 0, v16
	v_add_u32_e32 v1, 0x400, v0
	s_waitcnt vmcnt(5)
	ds_write2_b64 v0, v[2:3], v[4:5] offset1:55
	s_waitcnt vmcnt(3)
	ds_write2_b64 v0, v[6:7], v[8:9] offset0:110 offset1:165
	s_waitcnt vmcnt(1)
	ds_write2_b64 v1, v[10:11], v[12:13] offset0:92 offset1:147
	s_waitcnt vmcnt(0)
	ds_write_b64 v0, v[14:15] offset:2640
.LBB0_13:
	s_or_b64 exec, exec, s[4:5]
	v_lshl_add_u32 v33, v24, 3, 0
	v_add_u32_e32 v8, 0x800, v33
	s_waitcnt lgkmcnt(0)
	; wave barrier
	s_waitcnt lgkmcnt(0)
	ds_read2_b64 v[0:3], v33 offset1:35
	ds_read_b64 v[31:32], v33 offset:2800
	ds_read2_b64 v[4:7], v33 offset0:70 offset1:105
	ds_read2_b64 v[8:11], v8 offset0:24 offset1:59
	s_mov_b32 s6, 0x3ed4b147
	s_mov_b32 s7, 0xbf27a4f4
	s_waitcnt lgkmcnt(2)
	v_sub_f32_e32 v39, v3, v32
	v_mul_f32_e32 v43, 0xbf68dda4, v39
	s_waitcnt lgkmcnt(0)
	v_sub_f32_e32 v42, v5, v11
	v_add_f32_e32 v34, v31, v2
	v_mov_b32_e32 v12, v43
	v_mul_f32_e32 v47, 0xbf4178ce, v42
	v_fmac_f32_e32 v12, 0x3ed4b147, v34
	v_add_f32_e32 v35, v10, v4
	v_mov_b32_e32 v13, v47
	v_sub_f32_e32 v46, v2, v31
	v_add_f32_e32 v12, v0, v12
	v_fmac_f32_e32 v13, 0xbf27a4f4, v35
	v_add_f32_e32 v36, v32, v3
	v_mul_f32_e32 v51, 0xbf68dda4, v46
	v_sub_f32_e32 v48, v4, v10
	v_add_f32_e32 v12, v13, v12
	v_fma_f32 v13, v36, s6, -v51
	v_add_f32_e32 v37, v11, v5
	v_mul_f32_e32 v52, 0xbf4178ce, v48
	v_sub_f32_e32 v49, v7, v9
	v_add_f32_e32 v13, v1, v13
	v_fma_f32 v14, v37, s7, -v52
	v_mul_f32_e32 v54, 0x3e903f40, v49
	v_add_f32_e32 v25, v14, v13
	v_add_f32_e32 v38, v8, v6
	v_mov_b32_e32 v13, v54
	v_fmac_f32_e32 v13, 0xbf75a155, v38
	v_add_f32_e32 v26, v13, v12
	ds_read2_b64 v[16:19], v33 offset0:140 offset1:175
	ds_read2_b64 v[12:15], v33 offset0:210 offset1:245
	v_sub_f32_e32 v53, v6, v8
	s_mov_b32 s8, 0xbf75a155
	v_add_f32_e32 v40, v9, v7
	v_mul_f32_e32 v56, 0x3e903f40, v53
	s_waitcnt lgkmcnt(0)
	v_sub_f32_e32 v55, v17, v15
	v_fma_f32 v27, v40, s8, -v56
	v_mul_f32_e32 v59, 0x3f7d64f0, v55
	v_add_f32_e32 v25, v27, v25
	v_add_f32_e32 v41, v14, v16
	v_mov_b32_e32 v27, v59
	v_sub_f32_e32 v57, v16, v14
	v_fmac_f32_e32 v27, 0xbe11bafb, v41
	s_mov_b32 s9, 0xbe11bafb
	v_add_f32_e32 v44, v15, v17
	v_mul_f32_e32 v61, 0x3f7d64f0, v57
	v_sub_f32_e32 v58, v19, v13
	v_add_f32_e32 v26, v27, v26
	v_fma_f32 v27, v44, s9, -v61
	v_mul_f32_e32 v62, 0x3f0a6770, v58
	v_add_f32_e32 v27, v27, v25
	v_add_f32_e32 v45, v12, v18
	v_mov_b32_e32 v25, v62
	v_sub_f32_e32 v60, v18, v12
	s_mov_b32 s14, 0x3f575c64
	v_fmac_f32_e32 v25, 0x3f575c64, v45
	v_add_f32_e32 v50, v13, v19
	v_mul_f32_e32 v63, 0x3f0a6770, v60
	v_add_f32_e32 v25, v25, v26
	v_fma_f32 v26, v50, s14, -v63
	v_mul_f32_e32 v64, 0xbf7d64f0, v39
	v_add_f32_e32 v26, v26, v27
	v_mov_b32_e32 v27, v64
	v_mul_f32_e32 v65, 0x3e903f40, v42
	v_fmac_f32_e32 v27, 0xbe11bafb, v34
	v_mov_b32_e32 v28, v65
	v_add_f32_e32 v27, v0, v27
	v_fmac_f32_e32 v28, 0xbf75a155, v35
	v_mul_f32_e32 v68, 0xbf7d64f0, v46
	v_add_f32_e32 v27, v28, v27
	v_fma_f32 v28, v36, s9, -v68
	v_mul_f32_e32 v69, 0x3e903f40, v48
	v_add_f32_e32 v28, v1, v28
	v_fma_f32 v29, v37, s8, -v69
	v_mul_f32_e32 v66, 0x3f68dda4, v49
	v_add_f32_e32 v28, v29, v28
	v_mov_b32_e32 v29, v66
	v_fmac_f32_e32 v29, 0x3ed4b147, v38
	v_mul_f32_e32 v71, 0x3f68dda4, v53
	v_add_f32_e32 v27, v29, v27
	v_fma_f32 v29, v40, s6, -v71
	v_mul_f32_e32 v67, 0xbf0a6770, v55
	v_add_f32_e32 v28, v29, v28
	v_mov_b32_e32 v29, v67
	v_fmac_f32_e32 v29, 0x3f575c64, v41
	;; [unrolled: 7-line block ×3, first 2 shown]
	v_mul_f32_e32 v73, 0xbf4178ce, v60
	v_add_f32_e32 v27, v29, v27
	v_fma_f32 v29, v50, s7, -v73
	v_mul_f32_e32 v74, 0xbf4178ce, v39
	v_add_f32_e32 v28, v29, v28
	v_mov_b32_e32 v29, v74
	v_mul_f32_e32 v75, 0x3f7d64f0, v42
	v_fmac_f32_e32 v29, 0xbf27a4f4, v34
	v_mov_b32_e32 v30, v75
	v_add_f32_e32 v29, v0, v29
	v_fmac_f32_e32 v30, 0xbe11bafb, v35
	v_mul_f32_e32 v78, 0xbf4178ce, v46
	v_add_f32_e32 v29, v30, v29
	v_fma_f32 v30, v36, s7, -v78
	v_mul_f32_e32 v79, 0x3f7d64f0, v48
	v_add_f32_e32 v30, v1, v30
	v_fma_f32 v76, v37, s9, -v79
	v_add_f32_e32 v30, v76, v30
	v_mul_f32_e32 v76, 0xbf0a6770, v49
	v_mov_b32_e32 v77, v76
	v_fmac_f32_e32 v77, 0x3f575c64, v38
	v_mul_f32_e32 v81, 0xbf0a6770, v53
	v_add_f32_e32 v29, v77, v29
	v_fma_f32 v77, v40, s14, -v81
	v_add_f32_e32 v30, v77, v30
	v_mul_f32_e32 v77, 0xbe903f40, v55
	v_mov_b32_e32 v80, v77
	v_fmac_f32_e32 v80, 0xbf75a155, v41
	;; [unrolled: 7-line block ×3, first 2 shown]
	v_add_f32_e32 v29, v83, v29
	v_mul_f32_e32 v83, 0x3f68dda4, v60
	v_fma_f32 v84, v50, s6, -v83
	v_add_f32_e32 v30, v84, v30
	v_cmp_gt_u32_e64 s[0:1], 35, v24
	s_waitcnt lgkmcnt(0)
	; wave barrier
	s_and_saveexec_b64 s[4:5], s[0:1]
	s_cbranch_execz .LBB0_15
; %bb.14:
	v_mul_f32_e32 v86, 0x3ed4b147, v34
	v_mul_f32_e32 v87, 0x3ed4b147, v36
	;; [unrolled: 1-line block ×4, first 2 shown]
	v_add_f32_e32 v51, v51, v87
	v_sub_f32_e32 v43, v86, v43
	v_mul_f32_e32 v98, 0xbf75a155, v38
	v_mul_f32_e32 v99, 0xbf75a155, v40
	v_add_f32_e32 v51, v1, v51
	v_add_f32_e32 v52, v52, v93
	v_add_f32_e32 v43, v0, v43
	v_sub_f32_e32 v47, v92, v47
	v_mul_f32_e32 v104, 0xbe11bafb, v41
	v_mul_f32_e32 v105, 0xbe11bafb, v44
	v_add_f32_e32 v51, v52, v51
	v_add_f32_e32 v52, v56, v99
	;; [unrolled: 6-line block ×3, first 2 shown]
	v_add_f32_e32 v43, v47, v43
	v_sub_f32_e32 v47, v104, v59
	v_mul_f32_e32 v115, 0xbe903f40, v46
	v_add_f32_e32 v51, v52, v51
	v_add_f32_e32 v52, v63, v111
	;; [unrolled: 1-line block ×3, first 2 shown]
	v_sub_f32_e32 v47, v110, v62
	v_mul_f32_e32 v46, 0xbf0a6770, v46
	v_mov_b32_e32 v84, v115
	v_mul_f32_e32 v116, 0x3f0a6770, v48
	v_add_f32_e32 v52, v52, v51
	v_add_f32_e32 v51, v47, v43
	v_mov_b32_e32 v43, v46
	v_mul_f32_e32 v47, 0xbf68dda4, v48
	v_fmac_f32_e32 v84, 0xbf75a155, v36
	v_mov_b32_e32 v85, v116
	v_fmac_f32_e32 v43, 0x3f575c64, v36
	v_mov_b32_e32 v48, v47
	v_add_f32_e32 v84, v1, v84
	v_fmac_f32_e32 v85, 0x3f575c64, v37
	v_mul_f32_e32 v117, 0xbf4178ce, v53
	v_add_f32_e32 v43, v1, v43
	v_fmac_f32_e32 v48, 0x3ed4b147, v37
	v_add_f32_e32 v84, v85, v84
	v_mov_b32_e32 v85, v117
	v_add_f32_e32 v43, v48, v43
	v_mul_f32_e32 v48, 0xbf7d64f0, v53
	v_fmac_f32_e32 v85, 0xbf27a4f4, v40
	v_mul_f32_e32 v118, 0x3f68dda4, v57
	v_mov_b32_e32 v53, v48
	v_add_f32_e32 v84, v85, v84
	v_mov_b32_e32 v85, v118
	v_fmac_f32_e32 v53, 0xbe11bafb, v40
	v_fmac_f32_e32 v85, 0x3ed4b147, v44
	v_mul_f32_e32 v119, 0xbf7d64f0, v60
	v_add_f32_e32 v43, v53, v43
	v_mul_f32_e32 v53, 0xbf4178ce, v57
	v_add_f32_e32 v84, v85, v84
	v_mov_b32_e32 v85, v119
	v_mov_b32_e32 v54, v53
	v_fmac_f32_e32 v85, 0xbe11bafb, v50
	v_mul_f32_e32 v120, 0xbe903f40, v39
	v_fmac_f32_e32 v54, 0xbf27a4f4, v44
	v_add_f32_e32 v85, v85, v84
	v_fma_f32 v84, v34, s8, -v120
	v_mul_f32_e32 v121, 0x3f0a6770, v42
	v_add_f32_e32 v43, v54, v43
	v_mul_f32_e32 v54, 0xbe903f40, v60
	v_add_f32_e32 v3, v1, v3
	v_add_f32_e32 v2, v0, v2
	;; [unrolled: 1-line block ×3, first 2 shown]
	v_fma_f32 v122, v35, s14, -v121
	v_mov_b32_e32 v56, v54
	v_add_f32_e32 v3, v3, v5
	v_add_f32_e32 v2, v2, v4
	v_fma_f32 v4, v36, s8, -v115
	v_add_f32_e32 v84, v122, v84
	v_mul_f32_e32 v122, 0xbf4178ce, v49
	v_fmac_f32_e32 v56, 0xbf75a155, v50
	v_mul_f32_e32 v39, 0xbf0a6770, v39
	v_add_f32_e32 v3, v3, v7
	v_add_f32_e32 v2, v2, v6
	;; [unrolled: 1-line block ×3, first 2 shown]
	v_fma_f32 v5, v37, s14, -v116
	v_mul_f32_e32 v89, 0xbe11bafb, v36
	v_mul_f32_e32 v91, 0xbf27a4f4, v36
	v_fma_f32 v123, v38, s7, -v122
	v_add_f32_e32 v43, v56, v43
	v_fma_f32 v56, v34, s14, -v39
	v_mul_f32_e32 v57, 0xbf68dda4, v42
	v_add_f32_e32 v3, v3, v17
	v_add_f32_e32 v2, v2, v16
	;; [unrolled: 1-line block ×3, first 2 shown]
	v_fma_f32 v5, v40, s7, -v117
	v_mul_f32_e32 v88, 0xbe11bafb, v34
	v_mul_f32_e32 v90, 0xbf27a4f4, v34
	v_add_f32_e32 v84, v123, v84
	v_mul_f32_e32 v123, 0x3f68dda4, v55
	v_add_f32_e32 v78, v78, v91
	v_add_f32_e32 v68, v68, v89
	v_add_f32_e32 v56, v0, v56
	v_fma_f32 v42, v35, s6, -v57
	v_mul_f32_e32 v49, 0xbf7d64f0, v49
	v_add_f32_e32 v3, v3, v19
	v_add_f32_e32 v2, v2, v18
	;; [unrolled: 1-line block ×3, first 2 shown]
	v_fma_f32 v5, v44, s6, -v118
	v_fma_f32 v6, v36, s14, -v46
	v_mul_f32_e32 v94, 0xbf75a155, v35
	v_mul_f32_e32 v95, 0xbf75a155, v37
	;; [unrolled: 1-line block ×4, first 2 shown]
	v_fma_f32 v124, v41, s6, -v123
	v_add_f32_e32 v78, v1, v78
	v_sub_f32_e32 v74, v90, v74
	v_add_f32_e32 v68, v1, v68
	v_sub_f32_e32 v64, v88, v64
	v_add_f32_e32 v42, v42, v56
	v_fma_f32 v56, v38, s9, -v49
	v_mul_f32_e32 v55, 0xbf4178ce, v55
	v_add_f32_e32 v3, v3, v13
	v_add_f32_e32 v2, v2, v12
	;; [unrolled: 1-line block ×3, first 2 shown]
	v_fma_f32 v5, v50, s9, -v119
	v_fmac_f32_e32 v120, 0xbf75a155, v34
	v_add_f32_e32 v1, v1, v6
	v_fma_f32 v6, v37, s6, -v47
	v_fmac_f32_e32 v39, 0x3f575c64, v34
	v_mul_f32_e32 v100, 0x3ed4b147, v38
	v_mul_f32_e32 v101, 0x3ed4b147, v40
	;; [unrolled: 1-line block ×4, first 2 shown]
	v_add_f32_e32 v84, v124, v84
	v_mul_f32_e32 v124, 0xbf7d64f0, v58
	v_add_f32_e32 v79, v79, v97
	v_add_f32_e32 v74, v0, v74
	v_sub_f32_e32 v75, v96, v75
	v_add_f32_e32 v69, v69, v95
	v_add_f32_e32 v64, v0, v64
	v_sub_f32_e32 v65, v94, v65
	v_add_f32_e32 v42, v56, v42
	v_fma_f32 v56, v41, s7, -v55
	v_add_f32_e32 v3, v3, v15
	v_add_f32_e32 v2, v2, v14
	v_add_f32_e32 v5, v5, v4
	v_add_f32_e32 v4, v0, v120
	v_fmac_f32_e32 v121, 0x3f575c64, v35
	v_add_f32_e32 v1, v6, v1
	v_fma_f32 v6, v40, s9, -v48
	v_add_f32_e32 v0, v0, v39
	v_fmac_f32_e32 v57, 0x3ed4b147, v35
	v_mul_f32_e32 v106, 0x3f575c64, v41
	v_mul_f32_e32 v107, 0x3f575c64, v44
	;; [unrolled: 1-line block ×4, first 2 shown]
	v_fma_f32 v125, v45, s9, -v124
	v_add_f32_e32 v78, v79, v78
	v_add_f32_e32 v79, v81, v103
	;; [unrolled: 1-line block ×3, first 2 shown]
	v_sub_f32_e32 v75, v102, v76
	v_add_f32_e32 v68, v69, v68
	v_add_f32_e32 v69, v71, v101
	;; [unrolled: 1-line block ×3, first 2 shown]
	v_sub_f32_e32 v65, v100, v66
	v_add_f32_e32 v42, v56, v42
	v_mul_f32_e32 v56, 0xbe903f40, v58
	v_add_f32_e32 v3, v3, v9
	v_add_f32_e32 v2, v2, v8
	;; [unrolled: 1-line block ×3, first 2 shown]
	v_fmac_f32_e32 v122, 0xbf27a4f4, v38
	v_add_f32_e32 v1, v6, v1
	v_fma_f32 v6, v44, s7, -v53
	v_add_f32_e32 v0, v57, v0
	v_fmac_f32_e32 v49, 0xbe11bafb, v38
	v_mul_f32_e32 v112, 0xbf27a4f4, v45
	v_mul_f32_e32 v113, 0xbf27a4f4, v50
	v_mul_f32_e32 v114, 0x3ed4b147, v45
	v_add_f32_e32 v84, v125, v84
	v_mul_f32_e32 v125, 0x3ed4b147, v50
	v_add_f32_e32 v78, v79, v78
	v_add_f32_e32 v79, v82, v109
	v_add_f32_e32 v74, v75, v74
	v_sub_f32_e32 v75, v108, v77
	v_add_f32_e32 v68, v69, v68
	v_add_f32_e32 v69, v72, v107
	;; [unrolled: 1-line block ×3, first 2 shown]
	v_sub_f32_e32 v65, v106, v67
	v_fma_f32 v58, v45, s8, -v56
	v_add_f32_e32 v3, v3, v11
	v_add_f32_e32 v2, v2, v10
	;; [unrolled: 1-line block ×3, first 2 shown]
	v_fmac_f32_e32 v123, 0x3ed4b147, v41
	v_add_f32_e32 v1, v6, v1
	v_fma_f32 v6, v50, s8, -v54
	v_add_f32_e32 v0, v49, v0
	v_fmac_f32_e32 v55, 0xbf27a4f4, v41
	s_movk_i32 s0, 0x50
	v_add_f32_e32 v78, v79, v78
	v_add_f32_e32 v79, v83, v125
	;; [unrolled: 1-line block ×3, first 2 shown]
	v_sub_f32_e32 v75, v114, v80
	v_add_f32_e32 v68, v69, v68
	v_add_f32_e32 v69, v73, v113
	;; [unrolled: 1-line block ×3, first 2 shown]
	v_sub_f32_e32 v65, v112, v70
	v_add_f32_e32 v42, v58, v42
	v_add_f32_e32 v3, v3, v32
	;; [unrolled: 1-line block ×4, first 2 shown]
	v_fmac_f32_e32 v124, 0xbe11bafb, v45
	v_add_f32_e32 v1, v6, v1
	v_add_f32_e32 v0, v55, v0
	v_fmac_f32_e32 v56, 0xbf75a155, v45
	v_mad_u32_u24 v6, v24, s0, v33
	v_add_f32_e32 v78, v79, v78
	v_add_f32_e32 v77, v75, v74
	v_add_f32_e32 v68, v69, v68
	v_add_f32_e32 v67, v65, v64
	v_add_f32_e32 v4, v124, v4
	v_add_f32_e32 v0, v56, v0
	ds_write2_b64 v6, v[2:3], v[42:43] offset1:1
	ds_write2_b64 v6, v[51:52], v[67:68] offset0:2 offset1:3
	ds_write2_b64 v6, v[77:78], v[84:85] offset0:4 offset1:5
	;; [unrolled: 1-line block ×4, first 2 shown]
	ds_write_b64 v6, v[0:1] offset:80
.LBB0_15:
	s_or_b64 exec, exec, s[4:5]
	s_movk_i32 s0, 0x75
	v_mul_lo_u16_sdwa v0, v24, s0 dst_sel:DWORD dst_unused:UNUSED_PAD src0_sel:BYTE_0 src1_sel:DWORD
	v_sub_u16_sdwa v1, v24, v0 dst_sel:DWORD dst_unused:UNUSED_PAD src0_sel:DWORD src1_sel:BYTE_1
	v_lshrrev_b16_e32 v1, 1, v1
	v_and_b32_e32 v1, 0x7f, v1
	v_add_u16_sdwa v0, v1, v0 dst_sel:DWORD dst_unused:UNUSED_PAD src0_sel:DWORD src1_sel:BYTE_1
	v_lshrrev_b16_e32 v19, 3, v0
	v_mul_lo_u16_e32 v0, 11, v19
	v_sub_u16_e32 v31, v24, v0
	v_mov_b32_e32 v0, 6
	v_mul_u32_u24_sdwa v0, v31, v0 dst_sel:DWORD dst_unused:UNUSED_PAD src0_sel:BYTE_0 src1_sel:DWORD
	v_lshlrev_b32_e32 v12, 3, v0
	s_load_dwordx2 s[4:5], s[2:3], 0x0
	s_waitcnt lgkmcnt(0)
	; wave barrier
	s_waitcnt lgkmcnt(0)
	global_load_dwordx4 v[0:3], v12, s[12:13]
	global_load_dwordx4 v[4:7], v12, s[12:13] offset:16
	global_load_dwordx4 v[8:11], v12, s[12:13] offset:32
	v_add_u32_e32 v12, 0x400, v33
	ds_read2_b64 v[13:16], v33 offset1:55
	ds_read2_b64 v[34:37], v33 offset0:110 offset1:165
	ds_read_b64 v[17:18], v33 offset:2640
	ds_read2_b64 v[38:41], v12 offset0:92 offset1:147
	s_mov_b32 s0, 0x3f5ff5aa
	s_mov_b32 s1, 0x3f3bfb3b
	;; [unrolled: 1-line block ×3, first 2 shown]
	s_waitcnt lgkmcnt(0)
	; wave barrier
	s_waitcnt vmcnt(2) lgkmcnt(0)
	v_mul_f32_e32 v32, v1, v16
	v_mul_f32_e32 v1, v1, v15
	;; [unrolled: 1-line block ×4, first 2 shown]
	s_waitcnt vmcnt(1)
	v_mul_f32_e32 v43, v5, v37
	v_mul_f32_e32 v5, v5, v36
	;; [unrolled: 1-line block ×4, first 2 shown]
	s_waitcnt vmcnt(0)
	v_mul_f32_e32 v45, v9, v41
	v_mul_f32_e32 v9, v9, v40
	;; [unrolled: 1-line block ×4, first 2 shown]
	v_fma_f32 v15, v0, v15, -v32
	v_fmac_f32_e32 v1, v0, v16
	v_fma_f32 v0, v2, v34, -v42
	v_fmac_f32_e32 v3, v2, v35
	;; [unrolled: 2-line block ×6, first 2 shown]
	v_add_f32_e32 v10, v15, v8
	v_add_f32_e32 v16, v1, v11
	v_sub_f32_e32 v8, v15, v8
	v_sub_f32_e32 v1, v1, v11
	v_add_f32_e32 v11, v0, v6
	v_add_f32_e32 v15, v3, v9
	v_sub_f32_e32 v0, v0, v6
	v_sub_f32_e32 v3, v3, v9
	;; [unrolled: 4-line block ×4, first 2 shown]
	v_sub_f32_e32 v10, v10, v6
	v_sub_f32_e32 v16, v16, v9
	;; [unrolled: 1-line block ×4, first 2 shown]
	v_add_f32_e32 v32, v2, v0
	v_add_f32_e32 v34, v4, v3
	v_sub_f32_e32 v35, v2, v0
	v_sub_f32_e32 v36, v4, v3
	v_add_f32_e32 v6, v6, v5
	v_add_f32_e32 v7, v9, v7
	v_sub_f32_e32 v2, v8, v2
	v_sub_f32_e32 v37, v1, v4
	;; [unrolled: 1-line block ×4, first 2 shown]
	v_add_f32_e32 v8, v32, v8
	v_add_f32_e32 v1, v34, v1
	v_mul_f32_e32 v9, 0x3f4a47b2, v10
	v_mul_f32_e32 v10, 0x3f4a47b2, v16
	;; [unrolled: 1-line block ×6, first 2 shown]
	v_add_f32_e32 v4, v6, v13
	v_add_f32_e32 v5, v7, v14
	v_mul_f32_e32 v36, 0x3f5ff5aa, v0
	v_mul_f32_e32 v38, 0x3f5ff5aa, v3
	v_fma_f32 v13, v17, s1, -v16
	v_fma_f32 v14, v18, s1, -v32
	;; [unrolled: 1-line block ×3, first 2 shown]
	v_mov_b32_e32 v17, v4
	v_mov_b32_e32 v32, v5
	v_fma_f32 v0, v0, s0, -v34
	v_fma_f32 v3, v3, s0, -v35
	s_mov_b32 s0, 0xbeae86e6
	v_fmac_f32_e32 v17, 0xbf955555, v6
	v_fmac_f32_e32 v32, 0xbf955555, v7
	v_fma_f32 v6, v18, s2, -v10
	v_fmac_f32_e32 v10, 0x3d64c772, v15
	v_fma_f32 v15, v37, s0, -v38
	;; [unrolled: 2-line block ×3, first 2 shown]
	v_add_f32_e32 v14, v14, v32
	v_add_f32_e32 v16, v16, v17
	v_fmac_f32_e32 v0, 0x3ee1c552, v8
	v_fmac_f32_e32 v15, 0x3ee1c552, v1
	;; [unrolled: 1-line block ×6, first 2 shown]
	v_add_f32_e32 v8, v15, v16
	v_add_f32_e32 v11, v0, v14
	v_sub_f32_e32 v14, v14, v0
	v_sub_f32_e32 v0, v16, v15
	v_mov_b32_e32 v16, 3
	v_add_f32_e32 v18, v9, v17
	v_add_f32_e32 v36, v10, v32
	;; [unrolled: 1-line block ×4, first 2 shown]
	v_fmac_f32_e32 v35, 0x3ee1c552, v1
	v_fmac_f32_e32 v3, 0x3ee1c552, v1
	v_mul_u32_u24_e32 v15, 0x268, v19
	v_lshlrev_b32_sdwa v16, v16, v31 dst_sel:DWORD dst_unused:UNUSED_PAD src0_sel:DWORD src1_sel:BYTE_0
	v_add_f32_e32 v6, v35, v18
	v_sub_f32_e32 v7, v36, v34
	v_sub_f32_e32 v9, v17, v2
	;; [unrolled: 1-line block ×3, first 2 shown]
	v_add3_u32 v15, 0, v15, v16
	v_add_f32_e32 v13, v3, v13
	v_add_f32_e32 v1, v2, v17
	v_sub_f32_e32 v2, v18, v35
	v_add_f32_e32 v3, v34, v36
	ds_write2_b64 v15, v[4:5], v[6:7] offset1:11
	ds_write2_b64 v15, v[8:9], v[10:11] offset0:22 offset1:33
	ds_write2_b64 v15, v[13:14], v[0:1] offset0:44 offset1:55
	ds_write_b64 v15, v[2:3] offset:528
	s_waitcnt lgkmcnt(0)
	; wave barrier
	s_waitcnt lgkmcnt(0)
	ds_read2_b64 v[4:7], v33 offset1:77
	ds_read2_b64 v[8:11], v33 offset0:154 offset1:231
	ds_read_b64 v[14:15], v33 offset:2464
	v_cmp_gt_u32_e64 s[0:1], 22, v24
	s_and_saveexec_b64 s[2:3], s[0:1]
	s_cbranch_execz .LBB0_17
; %bb.16:
	ds_read2_b64 v[16:19], v12 offset0:81 offset1:158
	ds_read2_b64 v[0:3], v33 offset0:55 offset1:132
	ds_read_b64 v[25:26], v33 offset:2904
	s_waitcnt lgkmcnt(2)
	v_mov_b32_e32 v28, v19
	v_mov_b32_e32 v27, v18
	;; [unrolled: 1-line block ×4, first 2 shown]
.LBB0_17:
	s_or_b64 exec, exec, s[2:3]
	v_lshlrev_b32_e32 v12, 2, v24
	v_mov_b32_e32 v13, 0
	v_lshlrev_b64 v[16:17], 3, v[12:13]
	v_mov_b32_e32 v12, s13
	v_add_co_u32_e64 v31, s[2:3], s12, v16
	v_addc_co_u32_e64 v32, s[2:3], v12, v17, s[2:3]
	global_load_dwordx4 v[16:19], v[31:32], off offset:528
	global_load_dwordx4 v[34:37], v[31:32], off offset:544
	s_waitcnt lgkmcnt(0)
	; wave barrier
	s_waitcnt vmcnt(1) lgkmcnt(0)
	v_mul_f32_e32 v12, v17, v7
	v_mul_f32_e32 v17, v17, v6
	;; [unrolled: 1-line block ×4, first 2 shown]
	s_waitcnt vmcnt(0)
	v_mul_f32_e32 v32, v35, v11
	v_mul_f32_e32 v35, v35, v10
	;; [unrolled: 1-line block ×4, first 2 shown]
	v_fma_f32 v6, v16, v6, -v12
	v_fmac_f32_e32 v17, v16, v7
	v_fma_f32 v7, v18, v8, -v31
	v_fmac_f32_e32 v19, v18, v9
	;; [unrolled: 2-line block ×4, first 2 shown]
	v_add_f32_e32 v9, v4, v6
	v_add_f32_e32 v10, v7, v8
	;; [unrolled: 1-line block ×3, first 2 shown]
	v_sub_f32_e32 v11, v6, v7
	v_sub_f32_e32 v14, v12, v8
	v_add_f32_e32 v15, v6, v12
	v_sub_f32_e32 v31, v7, v6
	v_add_f32_e32 v34, v5, v17
	v_sub_f32_e32 v38, v6, v12
	v_sub_f32_e32 v39, v7, v8
	v_add_f32_e32 v42, v17, v37
	v_add_f32_e32 v9, v9, v7
	v_fma_f32 v6, -0.5, v10, v4
	v_fma_f32 v7, -0.5, v36, v5
	v_sub_f32_e32 v16, v17, v37
	v_sub_f32_e32 v32, v8, v12
	v_add_f32_e32 v44, v11, v14
	v_fma_f32 v4, -0.5, v15, v4
	v_add_f32_e32 v11, v34, v19
	v_fma_f32 v5, -0.5, v42, v5
	v_add_f32_e32 v14, v9, v8
	v_mov_b32_e32 v8, v6
	v_mov_b32_e32 v9, v7
	v_sub_f32_e32 v18, v19, v35
	v_sub_f32_e32 v40, v17, v19
	;; [unrolled: 1-line block ×3, first 2 shown]
	v_mov_b32_e32 v10, v4
	v_add_f32_e32 v15, v11, v35
	v_mov_b32_e32 v11, v5
	v_fmac_f32_e32 v8, 0x3f737871, v16
	v_fmac_f32_e32 v9, 0xbf737871, v38
	v_sub_f32_e32 v17, v19, v17
	v_sub_f32_e32 v43, v35, v37
	v_add_f32_e32 v19, v40, v41
	v_fmac_f32_e32 v6, 0xbf737871, v16
	v_fmac_f32_e32 v4, 0x3f737871, v18
	;; [unrolled: 1-line block ×8, first 2 shown]
	v_add_f32_e32 v31, v31, v32
	v_add_f32_e32 v17, v17, v43
	;; [unrolled: 1-line block ×3, first 2 shown]
	v_fmac_f32_e32 v6, 0xbf167918, v18
	v_fmac_f32_e32 v4, 0xbf167918, v16
	v_add_f32_e32 v15, v15, v37
	v_fmac_f32_e32 v7, 0x3f167918, v39
	v_fmac_f32_e32 v5, 0x3f167918, v38
	;; [unrolled: 1-line block ×12, first 2 shown]
	ds_write2_b64 v33, v[14:15], v[8:9] offset1:77
	ds_write2_b64 v33, v[10:11], v[4:5] offset0:154 offset1:231
	ds_write_b64 v33, v[6:7] offset:2464
	s_and_saveexec_b64 s[2:3], s[0:1]
	s_cbranch_execz .LBB0_19
; %bb.18:
	v_not_b32_e32 v4, 21
	v_cndmask_b32_e64 v4, v4, 55, s[0:1]
	v_add_lshl_u32 v12, v24, v4, 2
	v_lshlrev_b64 v[4:5], 3, v[12:13]
	v_mov_b32_e32 v6, s13
	v_add_co_u32_e64 v12, s[0:1], s12, v4
	v_addc_co_u32_e64 v13, s[0:1], v6, v5, s[0:1]
	global_load_dwordx4 v[4:7], v[12:13], off offset:544
	global_load_dwordx4 v[8:11], v[12:13], off offset:528
	v_add_u32_e32 v12, 0x400, v33
	s_waitcnt vmcnt(1)
	v_mul_f32_e32 v13, v25, v7
	v_mul_f32_e32 v14, v27, v5
	s_waitcnt vmcnt(0)
	v_mul_f32_e32 v15, v29, v11
	v_mul_f32_e32 v16, v2, v9
	;; [unrolled: 1-line block ×6, first 2 shown]
	v_fmac_f32_e32 v13, v26, v6
	v_fmac_f32_e32 v14, v28, v4
	;; [unrolled: 1-line block ×4, first 2 shown]
	v_fma_f32 v2, v2, v8, -v9
	v_fma_f32 v3, v29, v10, -v11
	;; [unrolled: 1-line block ×4, first 2 shown]
	v_add_f32_e32 v5, v1, v16
	v_add_f32_e32 v6, v0, v2
	;; [unrolled: 1-line block ×6, first 2 shown]
	v_sub_f32_e32 v7, v15, v16
	v_sub_f32_e32 v9, v14, v13
	;; [unrolled: 1-line block ×8, first 2 shown]
	v_add_f32_e32 v5, v5, v15
	v_add_f32_e32 v6, v6, v3
	v_fma_f32 v3, -0.5, v11, v1
	v_fmac_f32_e32 v1, -0.5, v25
	v_fma_f32 v2, -0.5, v28, v0
	v_fmac_f32_e32 v0, -0.5, v32
	v_sub_f32_e32 v19, v13, v14
	v_sub_f32_e32 v27, v4, v8
	;; [unrolled: 1-line block ×4, first 2 shown]
	v_add_f32_e32 v15, v7, v9
	v_add_f32_e32 v9, v5, v14
	;; [unrolled: 1-line block ×3, first 2 shown]
	v_mov_b32_e32 v5, v3
	v_mov_b32_e32 v7, v1
	v_fmac_f32_e32 v1, 0xbf737871, v10
	v_mov_b32_e32 v4, v2
	v_mov_b32_e32 v6, v0
	v_fmac_f32_e32 v0, 0x3f737871, v16
	v_add_f32_e32 v11, v18, v19
	v_add_f32_e32 v19, v30, v31
	v_fmac_f32_e32 v3, 0x3f737871, v17
	v_fmac_f32_e32 v2, 0xbf737871, v29
	;; [unrolled: 1-line block ×8, first 2 shown]
	v_add_f32_e32 v18, v26, v27
	v_add_f32_e32 v9, v9, v13
	;; [unrolled: 1-line block ×3, first 2 shown]
	v_fmac_f32_e32 v3, 0xbf167918, v10
	v_fmac_f32_e32 v2, 0x3f167918, v16
	;; [unrolled: 1-line block ×14, first 2 shown]
	ds_write2_b64 v33, v[8:9], v[0:1] offset0:55 offset1:132
	ds_write2_b64 v12, v[2:3], v[4:5] offset0:81 offset1:158
	ds_write_b64 v33, v[6:7] offset:2904
.LBB0_19:
	s_or_b64 exec, exec, s[2:3]
	s_waitcnt lgkmcnt(0)
	; wave barrier
	s_waitcnt lgkmcnt(0)
	s_and_saveexec_b64 s[0:1], vcc
	s_cbranch_execz .LBB0_21
; %bb.20:
	v_mul_lo_u32 v0, s5, v22
	v_mul_lo_u32 v1, s4, v23
	v_mad_u64_u32 v[4:5], s[0:1], s4, v22, 0
	v_mov_b32_e32 v7, s11
	v_lshl_add_u32 v6, v24, 3, 0
	v_add3_u32 v5, v5, v1, v0
	v_lshlrev_b64 v[4:5], 3, v[4:5]
	v_mov_b32_e32 v25, 0
	v_add_co_u32_e32 v8, vcc, s10, v4
	v_addc_co_u32_e32 v7, vcc, v7, v5, vcc
	v_lshlrev_b64 v[4:5], 3, v[20:21]
	ds_read2_b64 v[0:3], v6 offset1:55
	v_add_co_u32_e32 v8, vcc, v8, v4
	v_addc_co_u32_e32 v7, vcc, v7, v5, vcc
	v_lshlrev_b64 v[4:5], 3, v[24:25]
	v_add_co_u32_e32 v4, vcc, v8, v4
	v_addc_co_u32_e32 v5, vcc, v7, v5, vcc
	s_waitcnt lgkmcnt(0)
	global_store_dwordx2 v[4:5], v[0:1], off
	v_add_u32_e32 v0, 55, v24
	v_mov_b32_e32 v1, v25
	v_lshlrev_b64 v[0:1], 3, v[0:1]
	v_add_u32_e32 v4, 0x6e, v24
	v_add_co_u32_e32 v0, vcc, v8, v0
	v_addc_co_u32_e32 v1, vcc, v7, v1, vcc
	global_store_dwordx2 v[0:1], v[2:3], off
	v_mov_b32_e32 v5, v25
	ds_read2_b64 v[0:3], v6 offset0:110 offset1:165
	v_lshlrev_b64 v[4:5], 3, v[4:5]
	v_add_co_u32_e32 v4, vcc, v8, v4
	v_addc_co_u32_e32 v5, vcc, v7, v5, vcc
	s_waitcnt lgkmcnt(0)
	global_store_dwordx2 v[4:5], v[0:1], off
	v_add_u32_e32 v0, 0xa5, v24
	v_mov_b32_e32 v1, v25
	v_lshlrev_b64 v[0:1], 3, v[0:1]
	v_add_u32_e32 v4, 0xdc, v24
	v_add_co_u32_e32 v0, vcc, v8, v0
	v_addc_co_u32_e32 v1, vcc, v7, v1, vcc
	global_store_dwordx2 v[0:1], v[2:3], off
	v_add_u32_e32 v0, 0x400, v6
	v_mov_b32_e32 v5, v25
	ds_read2_b64 v[0:3], v0 offset0:92 offset1:147
	v_lshlrev_b64 v[4:5], 3, v[4:5]
	v_add_co_u32_e32 v4, vcc, v8, v4
	v_addc_co_u32_e32 v5, vcc, v7, v5, vcc
	s_waitcnt lgkmcnt(0)
	global_store_dwordx2 v[4:5], v[0:1], off
	v_add_u32_e32 v0, 0x113, v24
	v_mov_b32_e32 v1, v25
	v_lshlrev_b64 v[0:1], 3, v[0:1]
	v_add_u32_e32 v24, 0x14a, v24
	v_add_co_u32_e32 v0, vcc, v8, v0
	v_addc_co_u32_e32 v1, vcc, v7, v1, vcc
	global_store_dwordx2 v[0:1], v[2:3], off
	ds_read_b64 v[0:1], v6 offset:2640
	v_lshlrev_b64 v[2:3], 3, v[24:25]
	v_add_co_u32_e32 v2, vcc, v8, v2
	v_addc_co_u32_e32 v3, vcc, v7, v3, vcc
	s_waitcnt lgkmcnt(0)
	global_store_dwordx2 v[2:3], v[0:1], off
.LBB0_21:
	s_endpgm
	.section	.rodata,"a",@progbits
	.p2align	6, 0x0
	.amdhsa_kernel fft_rtc_fwd_len385_factors_11_7_5_wgs_55_tpt_55_sp_op_CI_CI_unitstride_sbrr_dirReg
		.amdhsa_group_segment_fixed_size 0
		.amdhsa_private_segment_fixed_size 0
		.amdhsa_kernarg_size 104
		.amdhsa_user_sgpr_count 6
		.amdhsa_user_sgpr_private_segment_buffer 1
		.amdhsa_user_sgpr_dispatch_ptr 0
		.amdhsa_user_sgpr_queue_ptr 0
		.amdhsa_user_sgpr_kernarg_segment_ptr 1
		.amdhsa_user_sgpr_dispatch_id 0
		.amdhsa_user_sgpr_flat_scratch_init 0
		.amdhsa_user_sgpr_private_segment_size 0
		.amdhsa_uses_dynamic_stack 0
		.amdhsa_system_sgpr_private_segment_wavefront_offset 0
		.amdhsa_system_sgpr_workgroup_id_x 1
		.amdhsa_system_sgpr_workgroup_id_y 0
		.amdhsa_system_sgpr_workgroup_id_z 0
		.amdhsa_system_sgpr_workgroup_info 0
		.amdhsa_system_vgpr_workitem_id 0
		.amdhsa_next_free_vgpr 126
		.amdhsa_next_free_sgpr 28
		.amdhsa_reserve_vcc 1
		.amdhsa_reserve_flat_scratch 0
		.amdhsa_float_round_mode_32 0
		.amdhsa_float_round_mode_16_64 0
		.amdhsa_float_denorm_mode_32 3
		.amdhsa_float_denorm_mode_16_64 3
		.amdhsa_dx10_clamp 1
		.amdhsa_ieee_mode 1
		.amdhsa_fp16_overflow 0
		.amdhsa_exception_fp_ieee_invalid_op 0
		.amdhsa_exception_fp_denorm_src 0
		.amdhsa_exception_fp_ieee_div_zero 0
		.amdhsa_exception_fp_ieee_overflow 0
		.amdhsa_exception_fp_ieee_underflow 0
		.amdhsa_exception_fp_ieee_inexact 0
		.amdhsa_exception_int_div_zero 0
	.end_amdhsa_kernel
	.text
.Lfunc_end0:
	.size	fft_rtc_fwd_len385_factors_11_7_5_wgs_55_tpt_55_sp_op_CI_CI_unitstride_sbrr_dirReg, .Lfunc_end0-fft_rtc_fwd_len385_factors_11_7_5_wgs_55_tpt_55_sp_op_CI_CI_unitstride_sbrr_dirReg
                                        ; -- End function
	.section	.AMDGPU.csdata,"",@progbits
; Kernel info:
; codeLenInByte = 5976
; NumSgprs: 32
; NumVgprs: 126
; ScratchSize: 0
; MemoryBound: 0
; FloatMode: 240
; IeeeMode: 1
; LDSByteSize: 0 bytes/workgroup (compile time only)
; SGPRBlocks: 3
; VGPRBlocks: 31
; NumSGPRsForWavesPerEU: 32
; NumVGPRsForWavesPerEU: 126
; Occupancy: 2
; WaveLimiterHint : 1
; COMPUTE_PGM_RSRC2:SCRATCH_EN: 0
; COMPUTE_PGM_RSRC2:USER_SGPR: 6
; COMPUTE_PGM_RSRC2:TRAP_HANDLER: 0
; COMPUTE_PGM_RSRC2:TGID_X_EN: 1
; COMPUTE_PGM_RSRC2:TGID_Y_EN: 0
; COMPUTE_PGM_RSRC2:TGID_Z_EN: 0
; COMPUTE_PGM_RSRC2:TIDIG_COMP_CNT: 0
	.type	__hip_cuid_419ae59051cf3aec,@object ; @__hip_cuid_419ae59051cf3aec
	.section	.bss,"aw",@nobits
	.globl	__hip_cuid_419ae59051cf3aec
__hip_cuid_419ae59051cf3aec:
	.byte	0                               ; 0x0
	.size	__hip_cuid_419ae59051cf3aec, 1

	.ident	"AMD clang version 19.0.0git (https://github.com/RadeonOpenCompute/llvm-project roc-6.4.0 25133 c7fe45cf4b819c5991fe208aaa96edf142730f1d)"
	.section	".note.GNU-stack","",@progbits
	.addrsig
	.addrsig_sym __hip_cuid_419ae59051cf3aec
	.amdgpu_metadata
---
amdhsa.kernels:
  - .args:
      - .actual_access:  read_only
        .address_space:  global
        .offset:         0
        .size:           8
        .value_kind:     global_buffer
      - .offset:         8
        .size:           8
        .value_kind:     by_value
      - .actual_access:  read_only
        .address_space:  global
        .offset:         16
        .size:           8
        .value_kind:     global_buffer
      - .actual_access:  read_only
        .address_space:  global
        .offset:         24
        .size:           8
        .value_kind:     global_buffer
      - .actual_access:  read_only
        .address_space:  global
        .offset:         32
        .size:           8
        .value_kind:     global_buffer
      - .offset:         40
        .size:           8
        .value_kind:     by_value
      - .actual_access:  read_only
        .address_space:  global
        .offset:         48
        .size:           8
        .value_kind:     global_buffer
      - .actual_access:  read_only
        .address_space:  global
        .offset:         56
        .size:           8
        .value_kind:     global_buffer
      - .offset:         64
        .size:           4
        .value_kind:     by_value
      - .actual_access:  read_only
        .address_space:  global
        .offset:         72
        .size:           8
        .value_kind:     global_buffer
      - .actual_access:  read_only
        .address_space:  global
        .offset:         80
        .size:           8
        .value_kind:     global_buffer
      - .actual_access:  read_only
        .address_space:  global
        .offset:         88
        .size:           8
        .value_kind:     global_buffer
      - .actual_access:  write_only
        .address_space:  global
        .offset:         96
        .size:           8
        .value_kind:     global_buffer
    .group_segment_fixed_size: 0
    .kernarg_segment_align: 8
    .kernarg_segment_size: 104
    .language:       OpenCL C
    .language_version:
      - 2
      - 0
    .max_flat_workgroup_size: 55
    .name:           fft_rtc_fwd_len385_factors_11_7_5_wgs_55_tpt_55_sp_op_CI_CI_unitstride_sbrr_dirReg
    .private_segment_fixed_size: 0
    .sgpr_count:     32
    .sgpr_spill_count: 0
    .symbol:         fft_rtc_fwd_len385_factors_11_7_5_wgs_55_tpt_55_sp_op_CI_CI_unitstride_sbrr_dirReg.kd
    .uniform_work_group_size: 1
    .uses_dynamic_stack: false
    .vgpr_count:     126
    .vgpr_spill_count: 0
    .wavefront_size: 64
amdhsa.target:   amdgcn-amd-amdhsa--gfx906
amdhsa.version:
  - 1
  - 2
...

	.end_amdgpu_metadata
